;; amdgpu-corpus repo=ROCm/rocFFT kind=compiled arch=gfx1030 opt=O3
	.text
	.amdgcn_target "amdgcn-amd-amdhsa--gfx1030"
	.amdhsa_code_object_version 6
	.protected	fft_rtc_back_len189_factors_7_3_3_3_wgs_63_tpt_21_dp_op_CI_CI_sbrr_dirReg ; -- Begin function fft_rtc_back_len189_factors_7_3_3_3_wgs_63_tpt_21_dp_op_CI_CI_sbrr_dirReg
	.globl	fft_rtc_back_len189_factors_7_3_3_3_wgs_63_tpt_21_dp_op_CI_CI_sbrr_dirReg
	.p2align	8
	.type	fft_rtc_back_len189_factors_7_3_3_3_wgs_63_tpt_21_dp_op_CI_CI_sbrr_dirReg,@function
fft_rtc_back_len189_factors_7_3_3_3_wgs_63_tpt_21_dp_op_CI_CI_sbrr_dirReg: ; @fft_rtc_back_len189_factors_7_3_3_3_wgs_63_tpt_21_dp_op_CI_CI_sbrr_dirReg
; %bb.0:
	s_clause 0x1
	s_load_dwordx4 s[16:19], s[4:5], 0x18
	s_load_dwordx4 s[12:15], s[4:5], 0x0
	v_mul_u32_u24_e32 v1, 0xc31, v0
	v_mov_b32_e32 v5, 0
	s_load_dwordx4 s[8:11], s[4:5], 0x58
	s_waitcnt lgkmcnt(0)
	s_load_dwordx2 s[20:21], s[16:17], 0x0
	s_load_dwordx2 s[2:3], s[18:19], 0x0
	v_lshrrev_b32_e32 v1, 16, v1
	v_cmp_lt_u64_e64 s0, s[14:15], 2
	v_mad_u64_u32 v[3:4], null, s6, 3, v[1:2]
	v_mov_b32_e32 v1, 0
	v_mov_b32_e32 v2, 0
	;; [unrolled: 1-line block ×3, first 2 shown]
	s_and_b32 vcc_lo, exec_lo, s0
	v_mov_b32_e32 v29, v2
	v_mov_b32_e32 v31, v4
	;; [unrolled: 1-line block ×4, first 2 shown]
	s_cbranch_vccnz .LBB0_8
; %bb.1:
	s_load_dwordx2 s[0:1], s[4:5], 0x10
	v_mov_b32_e32 v1, 0
	v_mov_b32_e32 v2, 0
	s_add_u32 s6, s18, 8
	v_mov_b32_e32 v8, v4
	s_addc_u32 s7, s19, 0
	v_mov_b32_e32 v7, v3
	v_mov_b32_e32 v29, v2
	s_add_u32 s22, s16, 8
	v_mov_b32_e32 v28, v1
	s_addc_u32 s23, s17, 0
	s_mov_b64 s[26:27], 1
	s_waitcnt lgkmcnt(0)
	s_add_u32 s24, s0, 8
	s_addc_u32 s25, s1, 0
.LBB0_2:                                ; =>This Inner Loop Header: Depth=1
	s_load_dwordx2 s[28:29], s[24:25], 0x0
                                        ; implicit-def: $vgpr30_vgpr31
	s_mov_b32 s0, exec_lo
	s_waitcnt lgkmcnt(0)
	v_or_b32_e32 v6, s29, v8
	v_cmpx_ne_u64_e32 0, v[5:6]
	s_xor_b32 s1, exec_lo, s0
	s_cbranch_execz .LBB0_4
; %bb.3:                                ;   in Loop: Header=BB0_2 Depth=1
	v_cvt_f32_u32_e32 v4, s28
	v_cvt_f32_u32_e32 v6, s29
	s_sub_u32 s0, 0, s28
	s_subb_u32 s30, 0, s29
	v_fmac_f32_e32 v4, 0x4f800000, v6
	v_rcp_f32_e32 v4, v4
	v_mul_f32_e32 v4, 0x5f7ffffc, v4
	v_mul_f32_e32 v6, 0x2f800000, v4
	v_trunc_f32_e32 v6, v6
	v_fmac_f32_e32 v4, 0xcf800000, v6
	v_cvt_u32_f32_e32 v6, v6
	v_cvt_u32_f32_e32 v4, v4
	v_mul_lo_u32 v9, s0, v6
	v_mul_hi_u32 v10, s0, v4
	v_mul_lo_u32 v11, s30, v4
	v_add_nc_u32_e32 v9, v10, v9
	v_mul_lo_u32 v10, s0, v4
	v_add_nc_u32_e32 v9, v9, v11
	v_mul_hi_u32 v11, v4, v10
	v_mul_lo_u32 v12, v4, v9
	v_mul_hi_u32 v13, v4, v9
	v_mul_hi_u32 v14, v6, v10
	v_mul_lo_u32 v10, v6, v10
	v_mul_hi_u32 v15, v6, v9
	v_mul_lo_u32 v9, v6, v9
	v_add_co_u32 v11, vcc_lo, v11, v12
	v_add_co_ci_u32_e32 v12, vcc_lo, 0, v13, vcc_lo
	v_add_co_u32 v10, vcc_lo, v11, v10
	v_add_co_ci_u32_e32 v10, vcc_lo, v12, v14, vcc_lo
	v_add_co_ci_u32_e32 v11, vcc_lo, 0, v15, vcc_lo
	v_add_co_u32 v9, vcc_lo, v10, v9
	v_add_co_ci_u32_e32 v10, vcc_lo, 0, v11, vcc_lo
	v_add_co_u32 v4, vcc_lo, v4, v9
	v_add_co_ci_u32_e32 v6, vcc_lo, v6, v10, vcc_lo
	v_mul_hi_u32 v9, s0, v4
	v_mul_lo_u32 v11, s30, v4
	v_mul_lo_u32 v10, s0, v6
	v_add_nc_u32_e32 v9, v9, v10
	v_mul_lo_u32 v10, s0, v4
	v_add_nc_u32_e32 v9, v9, v11
	v_mul_hi_u32 v11, v4, v10
	v_mul_lo_u32 v12, v4, v9
	v_mul_hi_u32 v13, v4, v9
	v_mul_hi_u32 v14, v6, v10
	v_mul_lo_u32 v10, v6, v10
	v_mul_hi_u32 v15, v6, v9
	v_mul_lo_u32 v9, v6, v9
	v_add_co_u32 v11, vcc_lo, v11, v12
	v_add_co_ci_u32_e32 v12, vcc_lo, 0, v13, vcc_lo
	v_add_co_u32 v10, vcc_lo, v11, v10
	v_add_co_ci_u32_e32 v10, vcc_lo, v12, v14, vcc_lo
	v_add_co_ci_u32_e32 v11, vcc_lo, 0, v15, vcc_lo
	v_add_co_u32 v9, vcc_lo, v10, v9
	v_add_co_ci_u32_e32 v10, vcc_lo, 0, v11, vcc_lo
	v_add_co_u32 v4, vcc_lo, v4, v9
	v_add_co_ci_u32_e32 v6, vcc_lo, v6, v10, vcc_lo
	v_mul_hi_u32 v15, v7, v4
	v_mad_u64_u32 v[11:12], null, v8, v4, 0
	v_mad_u64_u32 v[9:10], null, v7, v6, 0
	v_mad_u64_u32 v[13:14], null, v8, v6, 0
	v_add_co_u32 v4, vcc_lo, v15, v9
	v_add_co_ci_u32_e32 v6, vcc_lo, 0, v10, vcc_lo
	v_add_co_u32 v4, vcc_lo, v4, v11
	v_add_co_ci_u32_e32 v4, vcc_lo, v6, v12, vcc_lo
	v_add_co_ci_u32_e32 v6, vcc_lo, 0, v14, vcc_lo
	v_add_co_u32 v4, vcc_lo, v4, v13
	v_add_co_ci_u32_e32 v6, vcc_lo, 0, v6, vcc_lo
	v_mul_lo_u32 v11, s29, v4
	v_mad_u64_u32 v[9:10], null, s28, v4, 0
	v_mul_lo_u32 v12, s28, v6
	v_sub_co_u32 v9, vcc_lo, v7, v9
	v_add3_u32 v10, v10, v12, v11
	v_sub_nc_u32_e32 v11, v8, v10
	v_subrev_co_ci_u32_e64 v11, s0, s29, v11, vcc_lo
	v_add_co_u32 v12, s0, v4, 2
	v_add_co_ci_u32_e64 v13, s0, 0, v6, s0
	v_sub_co_u32 v14, s0, v9, s28
	v_sub_co_ci_u32_e32 v10, vcc_lo, v8, v10, vcc_lo
	v_subrev_co_ci_u32_e64 v11, s0, 0, v11, s0
	v_cmp_le_u32_e32 vcc_lo, s28, v14
	v_cmp_eq_u32_e64 s0, s29, v10
	v_cndmask_b32_e64 v14, 0, -1, vcc_lo
	v_cmp_le_u32_e32 vcc_lo, s29, v11
	v_cndmask_b32_e64 v15, 0, -1, vcc_lo
	v_cmp_le_u32_e32 vcc_lo, s28, v9
	;; [unrolled: 2-line block ×3, first 2 shown]
	v_cndmask_b32_e64 v16, 0, -1, vcc_lo
	v_cmp_eq_u32_e32 vcc_lo, s29, v11
	v_cndmask_b32_e64 v9, v16, v9, s0
	v_cndmask_b32_e32 v11, v15, v14, vcc_lo
	v_add_co_u32 v14, vcc_lo, v4, 1
	v_add_co_ci_u32_e32 v15, vcc_lo, 0, v6, vcc_lo
	v_cmp_ne_u32_e32 vcc_lo, 0, v11
	v_cndmask_b32_e32 v10, v15, v13, vcc_lo
	v_cndmask_b32_e32 v11, v14, v12, vcc_lo
	v_cmp_ne_u32_e32 vcc_lo, 0, v9
	v_cndmask_b32_e32 v31, v6, v10, vcc_lo
	v_cndmask_b32_e32 v30, v4, v11, vcc_lo
.LBB0_4:                                ;   in Loop: Header=BB0_2 Depth=1
	s_andn2_saveexec_b32 s0, s1
	s_cbranch_execz .LBB0_6
; %bb.5:                                ;   in Loop: Header=BB0_2 Depth=1
	v_cvt_f32_u32_e32 v4, s28
	s_sub_i32 s1, 0, s28
	v_mov_b32_e32 v31, v5
	v_rcp_iflag_f32_e32 v4, v4
	v_mul_f32_e32 v4, 0x4f7ffffe, v4
	v_cvt_u32_f32_e32 v4, v4
	v_mul_lo_u32 v6, s1, v4
	v_mul_hi_u32 v6, v4, v6
	v_add_nc_u32_e32 v4, v4, v6
	v_mul_hi_u32 v4, v7, v4
	v_mul_lo_u32 v6, v4, s28
	v_add_nc_u32_e32 v9, 1, v4
	v_sub_nc_u32_e32 v6, v7, v6
	v_subrev_nc_u32_e32 v10, s28, v6
	v_cmp_le_u32_e32 vcc_lo, s28, v6
	v_cndmask_b32_e32 v6, v6, v10, vcc_lo
	v_cndmask_b32_e32 v4, v4, v9, vcc_lo
	v_cmp_le_u32_e32 vcc_lo, s28, v6
	v_add_nc_u32_e32 v9, 1, v4
	v_cndmask_b32_e32 v30, v4, v9, vcc_lo
.LBB0_6:                                ;   in Loop: Header=BB0_2 Depth=1
	s_or_b32 exec_lo, exec_lo, s0
	v_mul_lo_u32 v4, v31, s28
	v_mul_lo_u32 v6, v30, s29
	s_load_dwordx2 s[0:1], s[22:23], 0x0
	v_mad_u64_u32 v[9:10], null, v30, s28, 0
	s_load_dwordx2 s[28:29], s[6:7], 0x0
	s_add_u32 s26, s26, 1
	s_addc_u32 s27, s27, 0
	s_add_u32 s6, s6, 8
	s_addc_u32 s7, s7, 0
	s_add_u32 s22, s22, 8
	v_add3_u32 v4, v10, v6, v4
	v_sub_co_u32 v6, vcc_lo, v7, v9
	s_addc_u32 s23, s23, 0
	s_add_u32 s24, s24, 8
	v_sub_co_ci_u32_e32 v4, vcc_lo, v8, v4, vcc_lo
	s_addc_u32 s25, s25, 0
	s_waitcnt lgkmcnt(0)
	v_mul_lo_u32 v7, s0, v4
	v_mul_lo_u32 v8, s1, v6
	v_mad_u64_u32 v[1:2], null, s0, v6, v[1:2]
	v_mul_lo_u32 v4, s28, v4
	v_mul_lo_u32 v9, s29, v6
	v_mad_u64_u32 v[28:29], null, s28, v6, v[28:29]
	v_cmp_ge_u64_e64 s0, s[26:27], s[14:15]
	v_add3_u32 v2, v8, v2, v7
	v_add3_u32 v29, v9, v29, v4
	s_and_b32 vcc_lo, exec_lo, s0
	s_cbranch_vccnz .LBB0_8
; %bb.7:                                ;   in Loop: Header=BB0_2 Depth=1
	v_mov_b32_e32 v7, v30
	v_mov_b32_e32 v8, v31
	s_branch .LBB0_2
.LBB0_8:
	s_load_dwordx2 s[0:1], s[4:5], 0x28
	v_mul_hi_u32 v4, 0xaaaaaaab, v3
	s_lshl_b64 s[6:7], s[14:15], 3
                                        ; implicit-def: $vgpr32
                                        ; implicit-def: $vgpr35
	s_add_u32 s4, s18, s6
	s_addc_u32 s5, s19, s7
	v_lshrrev_b32_e32 v4, 1, v4
	v_lshl_add_u32 v5, v4, 1, v4
	v_mul_hi_u32 v4, 0xc30c30d, v0
	v_sub_nc_u32_e32 v3, v3, v5
	s_waitcnt lgkmcnt(0)
	v_cmp_gt_u64_e32 vcc_lo, s[0:1], v[30:31]
	v_cmp_le_u64_e64 s0, s[0:1], v[30:31]
	s_and_saveexec_b32 s1, s0
	s_xor_b32 s0, exec_lo, s1
; %bb.9:
	v_mul_u32_u24_e32 v1, 21, v4
                                        ; implicit-def: $vgpr4
	v_sub_nc_u32_e32 v32, v0, v1
                                        ; implicit-def: $vgpr0
                                        ; implicit-def: $vgpr1_vgpr2
	v_add_nc_u32_e32 v35, 21, v32
; %bb.10:
	s_or_saveexec_b32 s1, s0
	v_mul_u32_u24_e32 v3, 0xbd, v3
	v_lshlrev_b32_e32 v33, 4, v3
	s_xor_b32 exec_lo, exec_lo, s1
	s_cbranch_execz .LBB0_12
; %bb.11:
	s_add_u32 s6, s16, s6
	s_addc_u32 s7, s17, s7
	v_mul_u32_u24_e32 v3, 21, v4
	s_load_dwordx2 s[6:7], s[6:7], 0x0
	v_lshlrev_b64 v[1:2], 4, v[1:2]
	v_sub_nc_u32_e32 v32, v0, v3
	v_mad_u64_u32 v[3:4], null, s20, v32, 0
	v_add_nc_u32_e32 v35, 21, v32
	v_add_nc_u32_e32 v16, 42, v32
	;; [unrolled: 1-line block ×5, first 2 shown]
	v_mad_u64_u32 v[5:6], null, s20, v35, 0
	v_mov_b32_e32 v0, v4
	v_mad_u64_u32 v[7:8], null, s20, v16, 0
	s_waitcnt lgkmcnt(0)
	v_mul_lo_u32 v4, s7, v30
	v_mul_lo_u32 v15, s6, v31
	v_mad_u64_u32 v[11:12], null, s6, v30, 0
	v_mad_u64_u32 v[9:10], null, s20, v17, 0
	;; [unrolled: 1-line block ×3, first 2 shown]
	v_mov_b32_e32 v0, v6
	v_mov_b32_e32 v6, v8
	v_add3_u32 v12, v12, v15, v4
	v_add_nc_u32_e32 v26, 0x7e, v32
	v_mov_b32_e32 v8, v10
	v_mad_u64_u32 v[14:15], null, s21, v35, v[0:1]
	v_lshlrev_b64 v[10:11], 4, v[11:12]
	v_mad_u64_u32 v[15:16], null, s21, v16, v[6:7]
	v_mov_b32_e32 v4, v13
	v_mad_u64_u32 v[12:13], null, s21, v17, v[8:9]
	v_add_co_u32 v0, s0, s8, v10
	v_mov_b32_e32 v6, v14
	v_add_co_ci_u32_e64 v10, s0, s9, v11, s0
	v_lshlrev_b64 v[3:4], 4, v[3:4]
	v_mov_b32_e32 v8, v15
	v_add_co_u32 v34, s0, v0, v1
	v_mad_u64_u32 v[16:17], null, s20, v18, 0
	v_add_co_ci_u32_e64 v41, s0, v10, v2, s0
	v_lshlrev_b64 v[0:1], 4, v[5:6]
	v_mov_b32_e32 v10, v12
	v_add_co_u32 v2, s0, v34, v3
	v_lshlrev_b64 v[13:14], 4, v[7:8]
	v_add_co_ci_u32_e64 v3, s0, v41, v4, s0
	v_lshlrev_b64 v[9:10], 4, v[9:10]
	v_add_co_u32 v4, s0, v34, v0
	v_mov_b32_e32 v8, v17
	v_add_co_ci_u32_e64 v5, s0, v41, v1, s0
	v_add_co_u32 v11, s0, v34, v13
	v_add_co_ci_u32_e64 v12, s0, v41, v14, s0
	v_mad_u64_u32 v[13:14], null, s21, v18, v[8:9]
	v_mad_u64_u32 v[18:19], null, s20, v24, 0
	;; [unrolled: 1-line block ×3, first 2 shown]
	v_add_co_u32 v14, s0, v34, v9
	v_add_nc_u32_e32 v36, 0x93, v32
	v_add_nc_u32_e32 v37, 0xa8, v32
	v_mov_b32_e32 v8, v19
	v_mov_b32_e32 v17, v13
	;; [unrolled: 1-line block ×3, first 2 shown]
	v_mad_u64_u32 v[22:23], null, s20, v36, 0
	v_add_co_ci_u32_e64 v15, s0, v41, v10, s0
	v_mad_u64_u32 v[24:25], null, s21, v24, v[8:9]
	v_mad_u64_u32 v[25:26], null, s21, v26, v[9:10]
	;; [unrolled: 1-line block ×3, first 2 shown]
	v_lshlrev_b64 v[16:17], 4, v[16:17]
	s_clause 0x1
	global_load_dwordx4 v[0:3], v[2:3], off
	global_load_dwordx4 v[4:7], v[4:5], off
	v_mov_b32_e32 v19, v24
	v_mad_u64_u32 v[23:24], null, s21, v36, v[23:24]
	v_mov_b32_e32 v21, v25
	v_mov_b32_e32 v24, v27
	v_lshlrev_b64 v[18:19], 4, v[18:19]
	v_add_co_u32 v16, s0, v34, v16
	v_lshlrev_b64 v[20:21], 4, v[20:21]
	v_mad_u64_u32 v[24:25], null, s21, v37, v[24:25]
	v_add_co_ci_u32_e64 v17, s0, v41, v17, s0
	v_add_co_u32 v36, s0, v34, v18
	v_add_co_ci_u32_e64 v37, s0, v41, v19, s0
	v_mov_b32_e32 v27, v24
	v_lshlrev_b64 v[18:19], 4, v[22:23]
	v_add_co_u32 v24, s0, v34, v20
	v_add_co_ci_u32_e64 v25, s0, v41, v21, s0
	v_lshlrev_b64 v[20:21], 4, v[26:27]
	v_add_co_u32 v38, s0, v34, v18
	v_add_co_ci_u32_e64 v39, s0, v41, v19, s0
	s_clause 0x1
	global_load_dwordx4 v[8:11], v[11:12], off
	global_load_dwordx4 v[12:15], v[14:15], off
	v_add_co_u32 v40, s0, v34, v20
	v_add_co_ci_u32_e64 v41, s0, v41, v21, s0
	s_clause 0x4
	global_load_dwordx4 v[16:19], v[16:17], off
	global_load_dwordx4 v[20:23], v[36:37], off
	global_load_dwordx4 v[24:27], v[24:25], off
	global_load_dwordx4 v[36:39], v[38:39], off
	global_load_dwordx4 v[40:43], v[40:41], off
	v_lshlrev_b32_e32 v34, 4, v32
	v_add3_u32 v34, 0, v33, v34
	s_waitcnt vmcnt(8)
	ds_write_b128 v34, v[0:3]
	s_waitcnt vmcnt(7)
	ds_write_b128 v34, v[4:7] offset:336
	s_waitcnt vmcnt(6)
	ds_write_b128 v34, v[8:11] offset:672
	s_waitcnt vmcnt(5)
	ds_write_b128 v34, v[12:15] offset:1008
	s_waitcnt vmcnt(4)
	ds_write_b128 v34, v[16:19] offset:1344
	s_waitcnt vmcnt(3)
	ds_write_b128 v34, v[20:23] offset:1680
	s_waitcnt vmcnt(2)
	ds_write_b128 v34, v[24:27] offset:2016
	s_waitcnt vmcnt(1)
	ds_write_b128 v34, v[36:39] offset:2352
	s_waitcnt vmcnt(0)
	ds_write_b128 v34, v[40:43] offset:2688
.LBB0_12:
	s_or_b32 exec_lo, exec_lo, s1
	v_lshlrev_b32_e32 v72, 4, v32
	s_load_dwordx2 s[4:5], s[4:5], 0x0
	s_waitcnt lgkmcnt(0)
	s_barrier
	buffer_gl0_inv
	v_add_nc_u32_e32 v0, 0, v72
	s_mov_b32 s16, 0xe976ee23
	s_mov_b32 s6, 0x429ad128
	;; [unrolled: 1-line block ×4, first 2 shown]
	v_add_nc_u32_e32 v34, v0, v33
	s_mov_b32 s26, 0x36b3c0b5
	s_mov_b32 s8, 0xb247c609
	s_mov_b32 s28, 0x37e14327
	s_mov_b32 s27, 0x3fac98ee
	ds_read_b128 v[0:3], v34 offset:2592
	ds_read_b128 v[36:39], v34 offset:432
	;; [unrolled: 1-line block ×12, first 2 shown]
	s_mov_b32 s9, 0xbfd5d0dc
	s_mov_b32 s15, 0x3fd5d0dc
	;; [unrolled: 1-line block ×10, first 2 shown]
	s_waitcnt lgkmcnt(10)
	v_add_f64 v[56:57], v[36:37], v[0:1]
	v_add_f64 v[58:59], v[38:39], v[2:3]
	s_waitcnt lgkmcnt(8)
	v_add_f64 v[60:61], v[40:41], v[44:45]
	v_add_f64 v[62:63], v[42:43], v[46:47]
	v_add_f64 v[44:45], v[40:41], -v[44:45]
	v_add_f64 v[46:47], v[42:43], -v[46:47]
	v_add_f64 v[74:75], v[38:39], -v[2:3]
	s_mov_b32 s24, 0x37c3f68c
	s_waitcnt lgkmcnt(2)
	v_add_f64 v[64:65], v[52:53], v[48:49]
	v_add_f64 v[66:67], v[54:55], v[50:51]
	v_add_f64 v[48:49], v[48:49], -v[52:53]
	v_add_f64 v[52:53], v[36:37], -v[0:1]
	v_add_nc_u32_e32 v36, 0, v33
	v_add_f64 v[50:51], v[50:51], -v[54:55]
	s_mov_b32 s25, 0xbfdc38aa
	s_mov_b32 s1, exec_lo
	ds_read_b128 v[0:3], v34 offset:336
	v_add_nc_u32_e32 v37, v36, v72
	ds_read_b128 v[40:43], v37
	s_waitcnt lgkmcnt(0)
	v_add_f64 v[68:69], v[60:61], v[56:57]
	v_add_f64 v[70:71], v[62:63], v[58:59]
	s_barrier
	buffer_gl0_inv
	v_add_f64 v[76:77], v[64:65], -v[60:61]
	v_add_f64 v[54:55], v[48:49], -v[44:45]
	;; [unrolled: 1-line block ×3, first 2 shown]
	v_add_f64 v[44:45], v[48:49], v[44:45]
	v_add_f64 v[78:79], v[50:51], -v[46:47]
	v_add_f64 v[48:49], v[52:53], -v[48:49]
	v_add_f64 v[68:69], v[64:65], v[68:69]
	v_add_f64 v[70:71], v[66:67], v[70:71]
	v_add_f64 v[64:65], v[56:57], -v[64:65]
	v_add_f64 v[56:57], v[60:61], -v[56:57]
	v_add_f64 v[60:61], v[50:51], v[46:47]
	v_add_f64 v[46:47], v[46:47], -v[74:75]
	v_add_f64 v[50:51], v[74:75], -v[50:51]
	v_mul_f64 v[54:55], v[54:55], s[16:17]
	v_add_f64 v[44:45], v[44:45], v[52:53]
	v_mul_f64 v[52:53], v[76:77], s[26:27]
	v_mul_f64 v[78:79], v[78:79], s[16:17]
	v_add_f64 v[38:39], v[40:41], v[68:69]
	v_add_f64 v[40:41], v[42:43], v[70:71]
	v_add_f64 v[42:43], v[66:67], -v[62:63]
	v_add_f64 v[66:67], v[58:59], -v[66:67]
	;; [unrolled: 1-line block ×3, first 2 shown]
	v_mul_f64 v[62:63], v[72:73], s[6:7]
	v_add_f64 v[60:61], v[60:61], v[74:75]
	v_mul_f64 v[64:65], v[64:65], s[28:29]
	v_fma_f64 v[72:73], v[72:73], s[6:7], -v[54:55]
	v_fma_f64 v[52:53], v[56:57], s[18:19], -v[52:53]
	v_fma_f64 v[68:69], v[68:69], s[20:21], v[38:39]
	v_fma_f64 v[70:71], v[70:71], s[20:21], v[40:41]
	v_mul_f64 v[74:75], v[42:43], s[26:27]
	v_mul_f64 v[66:67], v[66:67], s[28:29]
	v_fma_f64 v[62:63], v[48:49], s[14:15], -v[62:63]
	v_fma_f64 v[48:49], v[48:49], s[8:9], v[54:55]
	v_mul_f64 v[54:55], v[46:47], s[6:7]
	v_fma_f64 v[46:47], v[46:47], s[6:7], -v[78:79]
	v_fma_f64 v[56:57], v[56:57], s[22:23], -v[64:65]
	v_fma_f64 v[64:65], v[76:77], s[26:27], v[64:65]
	v_add_f64 v[52:53], v[52:53], v[68:69]
	v_fma_f64 v[74:75], v[58:59], s[18:19], -v[74:75]
	v_fma_f64 v[42:43], v[42:43], s[26:27], v[66:67]
	v_fma_f64 v[58:59], v[58:59], s[22:23], -v[66:67]
	v_fma_f64 v[66:67], v[44:45], s[24:25], v[72:73]
	v_fma_f64 v[62:63], v[44:45], s[24:25], v[62:63]
	v_fma_f64 v[54:55], v[50:51], s[14:15], -v[54:55]
	v_fma_f64 v[50:51], v[50:51], s[8:9], v[78:79]
	v_fma_f64 v[46:47], v[60:61], s[24:25], v[46:47]
	v_add_f64 v[64:65], v[64:65], v[68:69]
	v_fma_f64 v[72:73], v[60:61], s[24:25], v[54:55]
	v_add_f64 v[54:55], v[74:75], v[70:71]
	v_fma_f64 v[74:75], v[44:45], s[24:25], v[48:49]
	v_fma_f64 v[76:77], v[60:61], s[24:25], v[50:51]
	v_add_f64 v[60:61], v[56:57], v[68:69]
	v_add_f64 v[68:69], v[42:43], v[70:71]
	;; [unrolled: 1-line block ×3, first 2 shown]
	v_add_f64 v[42:43], v[52:53], -v[46:47]
	v_add_f64 v[46:47], v[52:53], v[46:47]
	v_add_f64 v[44:45], v[66:67], v[54:55]
	v_add_f64 v[48:49], v[54:55], -v[66:67]
	v_add_f64 v[54:55], v[64:65], v[76:77]
	v_add_f64 v[50:51], v[60:61], v[72:73]
	v_add_f64 v[56:57], v[68:69], -v[74:75]
	v_add_f64 v[52:53], v[70:71], -v[62:63]
	;; [unrolled: 1-line block ×3, first 2 shown]
	v_add_f64 v[60:61], v[62:63], v[70:71]
	v_add_f64 v[62:63], v[64:65], -v[76:77]
	v_add_f64 v[64:65], v[74:75], v[68:69]
	v_mad_u32_u24 v66, 0x70, v32, v36
	ds_write_b128 v66, v[38:41]
	ds_write_b128 v66, v[54:57] offset:16
	ds_write_b128 v66, v[50:53] offset:32
	;; [unrolled: 1-line block ×6, first 2 shown]
	v_cmpx_gt_u32_e32 6, v32
	s_cbranch_execz .LBB0_14
; %bb.13:
	v_add_f64 v[38:39], v[6:7], v[18:19]
	v_add_f64 v[40:41], v[10:11], v[14:15]
	;; [unrolled: 1-line block ×4, first 2 shown]
	v_add_f64 v[46:47], v[24:25], -v[20:21]
	v_add_f64 v[8:9], v[8:9], -v[12:13]
	v_add_f64 v[12:13], v[22:23], v[26:27]
	v_add_f64 v[20:21], v[20:21], v[24:25]
	v_add_f64 v[4:5], v[4:5], -v[16:17]
	v_add_f64 v[22:23], v[26:27], -v[22:23]
	;; [unrolled: 1-line block ×4, first 2 shown]
	v_add_f64 v[16:17], v[40:41], v[38:39]
	v_add_f64 v[14:15], v[44:45], v[42:43]
	v_add_f64 v[18:19], v[46:47], -v[8:9]
	v_add_f64 v[24:25], v[38:39], -v[12:13]
	;; [unrolled: 1-line block ×7, first 2 shown]
	v_add_f64 v[8:9], v[46:47], v[8:9]
	v_add_f64 v[10:11], v[22:23], v[10:11]
	v_add_f64 v[22:23], v[6:7], -v[22:23]
	v_add_f64 v[38:39], v[40:41], -v[38:39]
	;; [unrolled: 1-line block ×3, first 2 shown]
	v_add_f64 v[16:17], v[12:13], v[16:17]
	v_add_f64 v[12:13], v[12:13], -v[40:41]
	v_add_f64 v[14:15], v[20:21], v[14:15]
	v_add_f64 v[20:21], v[20:21], -v[44:45]
	v_mul_f64 v[18:19], v[18:19], s[16:17]
	v_mul_f64 v[24:25], v[24:25], s[28:29]
	;; [unrolled: 1-line block ×6, first 2 shown]
	v_add_f64 v[4:5], v[8:9], v[4:5]
	v_add_f64 v[6:7], v[10:11], v[6:7]
	;; [unrolled: 1-line block ×3, first 2 shown]
	v_mul_f64 v[40:41], v[12:13], s[26:27]
	v_add_f64 v[0:1], v[0:1], v[14:15]
	v_mul_f64 v[44:45], v[20:21], s[26:27]
	v_fma_f64 v[8:9], v[54:55], s[8:9], v[18:19]
	v_fma_f64 v[10:11], v[12:13], s[26:27], v[24:25]
	;; [unrolled: 1-line block ×3, first 2 shown]
	v_fma_f64 v[20:21], v[54:55], s[14:15], -v[46:47]
	v_fma_f64 v[24:25], v[38:39], s[22:23], -v[24:25]
	;; [unrolled: 1-line block ×5, first 2 shown]
	v_fma_f64 v[16:17], v[16:17], s[20:21], v[2:3]
	v_fma_f64 v[38:39], v[38:39], s[18:19], -v[40:41]
	v_fma_f64 v[40:41], v[22:23], s[8:9], v[50:51]
	v_fma_f64 v[14:15], v[14:15], s[20:21], v[0:1]
	v_fma_f64 v[22:23], v[22:23], s[14:15], -v[56:57]
	v_fma_f64 v[42:43], v[42:43], s[18:19], -v[44:45]
	v_fma_f64 v[8:9], v[4:5], s[24:25], v[8:9]
	v_fma_f64 v[20:21], v[4:5], s[24:25], v[20:21]
	;; [unrolled: 1-line block ×4, first 2 shown]
	v_add_f64 v[44:45], v[10:11], v[16:17]
	v_add_f64 v[24:25], v[24:25], v[16:17]
	;; [unrolled: 1-line block ×3, first 2 shown]
	v_fma_f64 v[38:39], v[6:7], s[24:25], v[40:41]
	v_add_f64 v[48:49], v[12:13], v[14:15]
	v_fma_f64 v[40:41], v[6:7], s[24:25], v[22:23]
	v_add_f64 v[50:51], v[26:27], v[14:15]
	v_add_f64 v[12:13], v[42:43], v[14:15]
	v_add_f64 v[26:27], v[44:45], -v[8:9]
	v_add_f64 v[10:11], v[20:21], v[24:25]
	v_add_f64 v[22:23], v[24:25], -v[20:21]
	v_add_f64 v[14:15], v[16:17], -v[4:5]
	v_add_f64 v[24:25], v[48:49], v[38:39]
	v_add_f64 v[18:19], v[4:5], v[16:17]
	;; [unrolled: 1-line block ×3, first 2 shown]
	v_add_f64 v[16:17], v[12:13], -v[46:47]
	v_add_f64 v[12:13], v[12:13], v[46:47]
	v_add_f64 v[6:7], v[8:9], v[44:45]
	v_add_f64 v[8:9], v[50:51], -v[40:41]
	v_add_f64 v[4:5], v[48:49], -v[38:39]
	v_mul_i32_i24_e32 v38, 0x70, v35
	v_add3_u32 v38, 0, v38, v33
	ds_write_b128 v38, v[0:3]
	ds_write_b128 v38, v[24:27] offset:16
	ds_write_b128 v38, v[20:23] offset:32
	;; [unrolled: 1-line block ×6, first 2 shown]
.LBB0_14:
	s_or_b32 exec_lo, exec_lo, s1
	v_and_b32_e32 v0, 0xff, v32
	v_add_nc_u32_e32 v4, 42, v32
	v_and_b32_e32 v1, 0xff, v35
	s_waitcnt lgkmcnt(0)
	s_barrier
	v_mul_lo_u16 v0, v0, 37
	v_and_b32_e32 v5, 0xff, v4
	v_mul_lo_u16 v1, v1, 37
	buffer_gl0_inv
	s_mov_b32 s6, 0xe8584caa
	v_lshrrev_b16 v0, 8, v0
	v_mul_lo_u16 v2, v5, 37
	v_lshrrev_b16 v1, 8, v1
	v_mul_lo_u16 v5, 0x87, v5
	s_mov_b32 s7, 0xbfebb67a
	v_sub_nc_u16 v3, v32, v0
	v_lshrrev_b16 v2, 8, v2
	v_sub_nc_u16 v6, v35, v1
	v_lshrrev_b16 v80, 8, v5
	s_mov_b32 s9, 0x3febb67a
	v_lshrrev_b16 v3, 1, v3
	v_sub_nc_u16 v7, v4, v2
	v_lshrrev_b16 v6, 1, v6
	s_mov_b32 s8, s6
	v_and_b32_e32 v3, 0x7f, v3
	v_lshrrev_b16 v7, 1, v7
	v_and_b32_e32 v6, 0x7f, v6
	v_add_nc_u16 v0, v3, v0
	v_and_b32_e32 v3, 0x7f, v7
	v_add_nc_u16 v1, v6, v1
	v_mov_b32_e32 v6, 5
	v_lshrrev_b16 v27, 2, v0
	v_add_nc_u16 v0, v3, v2
	v_lshrrev_b16 v11, 2, v1
	v_mul_lo_u16 v1, v27, 7
	v_lshrrev_b16 v12, 2, v0
	v_mul_lo_u16 v0, v11, 7
	v_sub_nc_u16 v7, v32, v1
	v_mul_lo_u16 v1, v12, 7
	v_sub_nc_u16 v9, v35, v0
	v_lshlrev_b32_sdwa v10, v6, v7 dst_sel:DWORD dst_unused:UNUSED_PAD src0_sel:DWORD src1_sel:BYTE_0
	v_sub_nc_u16 v8, v4, v1
	v_lshlrev_b32_sdwa v21, v6, v9 dst_sel:DWORD dst_unused:UNUSED_PAD src0_sel:DWORD src1_sel:BYTE_0
	s_clause 0x1
	global_load_dwordx4 v[0:3], v10, s[12:13]
	global_load_dwordx4 v[13:16], v10, s[12:13] offset:16
	v_lshlrev_b32_sdwa v10, v6, v8 dst_sel:DWORD dst_unused:UNUSED_PAD src0_sel:DWORD src1_sel:BYTE_0
	s_clause 0x3
	global_load_dwordx4 v[17:20], v21, s[12:13]
	global_load_dwordx4 v[21:24], v21, s[12:13] offset:16
	global_load_dwordx4 v[38:41], v10, s[12:13]
	global_load_dwordx4 v[42:45], v10, s[12:13] offset:16
	ds_read_b128 v[46:49], v34 offset:1008
	ds_read_b128 v[50:53], v34 offset:2016
	;; [unrolled: 1-line block ×6, first 2 shown]
	v_lshlrev_b32_e32 v10, 4, v35
	v_add3_u32 v5, 0, v10, v33
	s_waitcnt vmcnt(5) lgkmcnt(5)
	v_mul_f64 v[25:26], v[48:49], v[2:3]
	v_mul_f64 v[2:3], v[46:47], v[2:3]
	s_waitcnt vmcnt(4) lgkmcnt(4)
	v_mul_f64 v[70:71], v[52:53], v[15:16]
	v_mul_f64 v[15:16], v[50:51], v[15:16]
	;; [unrolled: 3-line block ×4, first 2 shown]
	s_waitcnt vmcnt(1) lgkmcnt(1)
	v_mul_f64 v[76:77], v[64:65], v[40:41]
	s_waitcnt vmcnt(0) lgkmcnt(0)
	v_mul_f64 v[78:79], v[68:69], v[44:45]
	v_mul_f64 v[40:41], v[62:63], v[40:41]
	;; [unrolled: 1-line block ×3, first 2 shown]
	v_fma_f64 v[25:26], v[46:47], v[0:1], v[25:26]
	v_fma_f64 v[2:3], v[48:49], v[0:1], -v[2:3]
	v_fma_f64 v[46:47], v[50:51], v[13:14], v[70:71]
	v_fma_f64 v[48:49], v[52:53], v[13:14], -v[15:16]
	;; [unrolled: 2-line block ×4, first 2 shown]
	v_fma_f64 v[58:59], v[62:63], v[38:39], v[76:77]
	v_fma_f64 v[60:61], v[66:67], v[42:43], v[78:79]
	v_fma_f64 v[38:39], v[64:65], v[38:39], -v[40:41]
	v_fma_f64 v[40:41], v[68:69], v[42:43], -v[44:45]
	v_sub_nc_u16 v17, v4, v80
	ds_read_b128 v[13:16], v37
	v_lshlrev_b32_e32 v0, 1, v32
	v_mov_b32_e32 v1, 0
	v_lshrrev_b16 v10, 1, v17
	ds_read_b128 v[17:20], v5
	ds_read_b128 v[21:24], v34 offset:672
	s_waitcnt lgkmcnt(0)
	v_lshlrev_b64 v[70:71], 4, v[0:1]
	v_and_b32_e32 v0, 0xffff, v27
	v_and_b32_e32 v62, 0x7f, v10
	v_mov_b32_e32 v10, 4
	v_add_f64 v[42:43], v[25:26], v[46:47]
	v_add_f64 v[44:45], v[2:3], v[48:49]
	v_add_f64 v[82:83], v[25:26], -v[46:47]
	v_add_nc_u16 v72, v62, v80
	v_add_f64 v[62:63], v[50:51], v[54:55]
	v_add_f64 v[64:65], v[52:53], v[56:57]
	v_add_f64 v[80:81], v[2:3], -v[48:49]
	v_add_f64 v[66:67], v[58:59], v[60:61]
	v_lshrrev_b16 v27, 4, v72
	v_add_f64 v[68:69], v[38:39], v[40:41]
	v_add_f64 v[72:73], v[13:14], v[25:26]
	;; [unrolled: 1-line block ×3, first 2 shown]
	v_add_f64 v[86:87], v[38:39], -v[40:41]
	v_add_f64 v[76:77], v[17:18], v[50:51]
	v_add_f64 v[25:26], v[21:22], v[58:59]
	;; [unrolled: 1-line block ×4, first 2 shown]
	v_add_f64 v[52:53], v[52:53], -v[56:57]
	v_add_f64 v[50:51], v[50:51], -v[54:55]
	;; [unrolled: 1-line block ×3, first 2 shown]
	v_add_co_u32 v2, s0, s12, v70
	v_fma_f64 v[42:43], v[42:43], -0.5, v[13:14]
	v_fma_f64 v[44:45], v[44:45], -0.5, v[15:16]
	v_add_co_ci_u32_e64 v3, s0, s13, v71, s0
	v_fma_f64 v[62:63], v[62:63], -0.5, v[17:18]
	v_fma_f64 v[64:65], v[64:65], -0.5, v[19:20]
	v_and_b32_e32 v70, 0xffff, v11
	v_fma_f64 v[66:67], v[66:67], -0.5, v[21:22]
	v_and_b32_e32 v71, 0xffff, v12
	v_fma_f64 v[68:69], v[68:69], -0.5, v[23:24]
	v_add_f64 v[11:12], v[72:73], v[46:47]
	v_add_f64 v[13:14], v[74:75], v[48:49]
	v_and_b32_e32 v27, 15, v27
	v_add_f64 v[15:16], v[76:77], v[54:55]
	v_add_f64 v[19:20], v[25:26], v[60:61]
	;; [unrolled: 1-line block ×4, first 2 shown]
	v_mad_u32_u24 v0, 0x150, v0, 0
	v_lshlrev_b32_sdwa v7, v10, v7 dst_sel:DWORD dst_unused:UNUSED_PAD src0_sel:DWORD src1_sel:BYTE_0
	v_mul_lo_u16 v27, v27, 21
	v_lshlrev_b32_sdwa v9, v10, v9 dst_sel:DWORD dst_unused:UNUSED_PAD src0_sel:DWORD src1_sel:BYTE_0
	s_barrier
	v_fma_f64 v[23:24], v[80:81], s[6:7], v[42:43]
	v_fma_f64 v[25:26], v[82:83], s[8:9], v[44:45]
	v_fma_f64 v[38:39], v[80:81], s[8:9], v[42:43]
	v_fma_f64 v[40:41], v[82:83], s[6:7], v[44:45]
	v_fma_f64 v[42:43], v[52:53], s[6:7], v[62:63]
	v_fma_f64 v[44:45], v[50:51], s[8:9], v[64:65]
	v_fma_f64 v[46:47], v[52:53], s[8:9], v[62:63]
	v_fma_f64 v[48:49], v[50:51], s[6:7], v[64:65]
	v_fma_f64 v[50:51], v[86:87], s[6:7], v[66:67]
	v_fma_f64 v[52:53], v[58:59], s[8:9], v[68:69]
	v_fma_f64 v[54:55], v[86:87], s[8:9], v[66:67]
	v_fma_f64 v[56:57], v[58:59], s[6:7], v[68:69]
	v_mad_u32_u24 v58, 0x150, v70, 0
	v_mad_u32_u24 v59, 0x150, v71, 0
	v_add3_u32 v0, v0, v7, v33
	v_lshlrev_b32_sdwa v7, v10, v8 dst_sel:DWORD dst_unused:UNUSED_PAD src0_sel:DWORD src1_sel:BYTE_0
	v_sub_nc_u16 v27, v4, v27
	v_add3_u32 v8, v58, v9, v33
	buffer_gl0_inv
	v_add3_u32 v7, v59, v7, v33
	ds_write_b128 v0, v[11:14]
	ds_write_b128 v0, v[23:26] offset:112
	ds_write_b128 v0, v[38:41] offset:224
	ds_write_b128 v8, v[15:18]
	ds_write_b128 v8, v[42:45] offset:112
	ds_write_b128 v8, v[46:49] offset:224
	ds_write_b128 v7, v[19:22]
	ds_write_b128 v7, v[50:53] offset:112
	ds_write_b128 v7, v[54:57] offset:224
	s_waitcnt lgkmcnt(0)
	s_barrier
	buffer_gl0_inv
	s_clause 0x1
	global_load_dwordx4 v[11:14], v[2:3], off offset:224
	global_load_dwordx4 v[15:18], v[2:3], off offset:240
	v_lshlrev_b32_sdwa v0, v6, v27 dst_sel:DWORD dst_unused:UNUSED_PAD src0_sel:DWORD src1_sel:BYTE_0
	s_clause 0x1
	global_load_dwordx4 v[6:9], v0, s[12:13] offset:224
	global_load_dwordx4 v[19:22], v0, s[12:13] offset:240
	ds_read_b128 v[23:26], v34 offset:1008
	ds_read_b128 v[38:41], v34 offset:2016
	;; [unrolled: 1-line block ×6, first 2 shown]
	v_lshlrev_b32_e32 v0, 1, v35
	v_lshlrev_b64 v[84:85], 4, v[0:1]
	v_lshlrev_b32_e32 v0, 1, v4
	s_waitcnt vmcnt(3) lgkmcnt(5)
	v_mul_f64 v[58:59], v[25:26], v[13:14]
	s_waitcnt vmcnt(2) lgkmcnt(4)
	v_mul_f64 v[60:61], v[40:41], v[17:18]
	v_mul_f64 v[62:63], v[23:24], v[13:14]
	;; [unrolled: 1-line block ×3, first 2 shown]
	s_waitcnt lgkmcnt(3)
	v_mul_f64 v[66:67], v[44:45], v[13:14]
	s_waitcnt lgkmcnt(2)
	v_mul_f64 v[68:69], v[48:49], v[17:18]
	v_mul_f64 v[13:14], v[42:43], v[13:14]
	;; [unrolled: 1-line block ×3, first 2 shown]
	s_waitcnt vmcnt(1) lgkmcnt(1)
	v_mul_f64 v[70:71], v[52:53], v[8:9]
	s_waitcnt vmcnt(0) lgkmcnt(0)
	v_mul_f64 v[72:73], v[56:57], v[21:22]
	v_mul_f64 v[8:9], v[50:51], v[8:9]
	v_mul_f64 v[21:22], v[54:55], v[21:22]
	v_fma_f64 v[23:24], v[23:24], v[11:12], v[58:59]
	v_fma_f64 v[38:39], v[38:39], v[15:16], v[60:61]
	v_fma_f64 v[25:26], v[25:26], v[11:12], -v[62:63]
	v_fma_f64 v[40:41], v[40:41], v[15:16], -v[64:65]
	v_fma_f64 v[42:43], v[42:43], v[11:12], v[66:67]
	v_fma_f64 v[46:47], v[46:47], v[15:16], v[68:69]
	v_fma_f64 v[44:45], v[44:45], v[11:12], -v[13:14]
	v_fma_f64 v[48:49], v[48:49], v[15:16], -v[17:18]
	;; [unrolled: 4-line block ×3, first 2 shown]
	ds_read_b128 v[6:9], v37
	ds_read_b128 v[11:14], v5
	ds_read_b128 v[15:18], v34 offset:672
	s_waitcnt lgkmcnt(0)
	s_barrier
	buffer_gl0_inv
	v_add_f64 v[21:22], v[23:24], v[38:39]
	v_add_f64 v[78:79], v[23:24], -v[38:39]
	v_add_f64 v[56:57], v[25:26], v[40:41]
	v_add_f64 v[58:59], v[42:43], v[46:47]
	v_add_f64 v[80:81], v[42:43], -v[46:47]
	v_add_f64 v[60:61], v[44:45], v[48:49]
	v_add_f64 v[66:67], v[6:7], v[23:24]
	;; [unrolled: 1-line block ×8, first 2 shown]
	v_add_f64 v[25:26], v[25:26], -v[40:41]
	v_add_f64 v[44:45], v[44:45], -v[48:49]
	v_add_f64 v[74:75], v[15:16], v[50:51]
	v_add_f64 v[52:53], v[52:53], -v[19:20]
	v_add_f64 v[82:83], v[50:51], -v[54:55]
	v_fma_f64 v[21:22], v[21:22], -0.5, v[6:7]
	v_fma_f64 v[56:57], v[56:57], -0.5, v[8:9]
	;; [unrolled: 1-line block ×4, first 2 shown]
	v_add_f64 v[6:7], v[66:67], v[38:39]
	v_fma_f64 v[62:63], v[62:63], -0.5, v[15:16]
	v_add_f64 v[8:9], v[68:69], v[40:41]
	v_fma_f64 v[64:65], v[64:65], -0.5, v[17:18]
	v_add_f64 v[11:12], v[70:71], v[46:47]
	v_add_f64 v[13:14], v[72:73], v[48:49]
	v_add_f64 v[17:18], v[76:77], v[19:20]
	v_add_f64 v[15:16], v[74:75], v[54:55]
	v_lshlrev_b64 v[54:55], 4, v[0:1]
	v_lshlrev_b32_sdwa v0, v10, v27 dst_sel:DWORD dst_unused:UNUSED_PAD src0_sel:DWORD src1_sel:BYTE_0
	v_fma_f64 v[19:20], v[25:26], s[6:7], v[21:22]
	v_fma_f64 v[23:24], v[25:26], s[8:9], v[21:22]
	;; [unrolled: 1-line block ×12, first 2 shown]
	v_add_co_u32 v56, s0, s12, v84
	v_add_co_ci_u32_e64 v57, s0, s13, v85, s0
	v_add3_u32 v0, 0, v0, v33
	ds_write_b128 v34, v[6:9]
	ds_write_b128 v34, v[11:14] offset:1008
	ds_write_b128 v34, v[19:22] offset:336
	;; [unrolled: 1-line block ×8, first 2 shown]
	s_waitcnt lgkmcnt(0)
	s_barrier
	buffer_gl0_inv
	s_clause 0x1
	global_load_dwordx4 v[6:9], v[2:3], off offset:896
	global_load_dwordx4 v[0:3], v[2:3], off offset:912
	v_add_co_u32 v22, s0, s12, v54
	v_add_co_ci_u32_e64 v23, s0, s13, v55, s0
	s_clause 0x3
	global_load_dwordx4 v[10:13], v[56:57], off offset:896
	global_load_dwordx4 v[14:17], v[56:57], off offset:912
	;; [unrolled: 1-line block ×4, first 2 shown]
	ds_read_b128 v[38:41], v34 offset:1008
	ds_read_b128 v[42:45], v34 offset:2016
	;; [unrolled: 1-line block ×6, first 2 shown]
	s_waitcnt vmcnt(5) lgkmcnt(5)
	v_mul_f64 v[26:27], v[40:41], v[8:9]
	s_waitcnt vmcnt(4) lgkmcnt(4)
	v_mul_f64 v[62:63], v[44:45], v[2:3]
	v_mul_f64 v[8:9], v[38:39], v[8:9]
	v_mul_f64 v[2:3], v[42:43], v[2:3]
	s_waitcnt vmcnt(3) lgkmcnt(3)
	v_mul_f64 v[64:65], v[48:49], v[12:13]
	s_waitcnt vmcnt(2) lgkmcnt(2)
	v_mul_f64 v[66:67], v[52:53], v[16:17]
	v_mul_f64 v[12:13], v[46:47], v[12:13]
	v_mul_f64 v[16:17], v[50:51], v[16:17]
	;; [unrolled: 6-line block ×3, first 2 shown]
	v_fma_f64 v[26:27], v[38:39], v[6:7], v[26:27]
	v_fma_f64 v[38:39], v[42:43], v[0:1], v[62:63]
	v_fma_f64 v[40:41], v[40:41], v[6:7], -v[8:9]
	v_fma_f64 v[42:43], v[44:45], v[0:1], -v[2:3]
	v_fma_f64 v[44:45], v[46:47], v[10:11], v[64:65]
	v_fma_f64 v[46:47], v[50:51], v[14:15], v[66:67]
	v_fma_f64 v[48:49], v[48:49], v[10:11], -v[12:13]
	v_fma_f64 v[14:15], v[52:53], v[14:15], -v[16:17]
	;; [unrolled: 4-line block ×3, first 2 shown]
	ds_read_b128 v[0:3], v37
	ds_read_b128 v[6:9], v5
	ds_read_b128 v[10:13], v34 offset:672
	s_waitcnt lgkmcnt(0)
	s_barrier
	buffer_gl0_inv
	v_add_f64 v[22:23], v[26:27], v[38:39]
	v_add_f64 v[24:25], v[40:41], v[42:43]
	v_add_f64 v[62:63], v[40:41], -v[42:43]
	v_add_f64 v[52:53], v[44:45], v[46:47]
	v_add_f64 v[54:55], v[48:49], v[14:15]
	;; [unrolled: 1-line block ×7, first 2 shown]
	v_add_f64 v[26:27], v[26:27], -v[38:39]
	v_add_f64 v[70:71], v[12:13], v[18:19]
	v_add_f64 v[64:65], v[6:7], v[44:45]
	v_add_f64 v[48:49], v[48:49], -v[14:15]
	v_add_f64 v[44:45], v[44:45], -v[46:47]
	v_add_f64 v[68:69], v[10:11], v[16:17]
	v_add_f64 v[72:73], v[18:19], -v[20:21]
	v_add_f64 v[74:75], v[16:17], -v[50:51]
	v_fma_f64 v[22:23], v[22:23], -0.5, v[0:1]
	v_fma_f64 v[24:25], v[24:25], -0.5, v[2:3]
	;; [unrolled: 1-line block ×4, first 2 shown]
	v_add_f64 v[0:1], v[60:61], v[38:39]
	v_fma_f64 v[56:57], v[56:57], -0.5, v[10:11]
	v_add_f64 v[2:3], v[40:41], v[42:43]
	v_fma_f64 v[58:59], v[58:59], -0.5, v[12:13]
	v_add_f64 v[8:9], v[66:67], v[14:15]
	v_add_f64 v[12:13], v[70:71], v[20:21]
	;; [unrolled: 1-line block ×4, first 2 shown]
	v_fma_f64 v[14:15], v[62:63], s[6:7], v[22:23]
	v_fma_f64 v[18:19], v[62:63], s[8:9], v[22:23]
	;; [unrolled: 1-line block ×12, first 2 shown]
	ds_write_b128 v34, v[0:3]
	ds_write_b128 v34, v[14:17] offset:1008
	ds_write_b128 v34, v[18:21] offset:2016
	ds_write_b128 v5, v[6:9]
	ds_write_b128 v5, v[22:25] offset:1008
	ds_write_b128 v5, v[37:40] offset:2016
	;; [unrolled: 1-line block ×5, first 2 shown]
	s_waitcnt lgkmcnt(0)
	s_barrier
	buffer_gl0_inv
	s_and_saveexec_b32 s0, vcc_lo
	s_cbranch_execz .LBB0_16
; %bb.15:
	v_mul_lo_u32 v4, s5, v30
	v_mul_lo_u32 v5, s4, v31
	v_mad_u64_u32 v[0:1], null, s4, v30, 0
	v_add_nc_u32_e32 v6, 21, v32
	v_mad_u64_u32 v[2:3], null, s2, v32, 0
	v_add_nc_u32_e32 v7, 42, v32
	v_add_nc_u32_e32 v13, 63, v32
	v_mad_u64_u32 v[8:9], null, s2, v6, 0
	v_add3_u32 v1, v1, v5, v4
	v_mad_u64_u32 v[10:11], null, s2, v7, 0
	v_mad_u64_u32 v[3:4], null, s3, v32, v[3:4]
	v_lshlrev_b64 v[0:1], 4, v[0:1]
	v_mov_b32_e32 v4, v9
	v_mad_u64_u32 v[16:17], null, s2, v13, 0
	v_add_nc_u32_e32 v26, 0x54, v32
	v_lshl_add_u32 v30, v32, 4, v36
	v_add_co_u32 v9, vcc_lo, s10, v0
	v_add_co_ci_u32_e32 v12, vcc_lo, s11, v1, vcc_lo
	v_lshlrev_b64 v[0:1], 4, v[28:29]
	v_mad_u64_u32 v[4:5], null, s3, v6, v[4:5]
	v_mad_u64_u32 v[20:21], null, s2, v26, 0
	v_add_nc_u32_e32 v29, 0x69, v32
	v_add_co_u32 v31, vcc_lo, v9, v0
	v_add_co_ci_u32_e32 v33, vcc_lo, v12, v1, vcc_lo
	v_lshlrev_b64 v[0:1], 4, v[2:3]
	v_mov_b32_e32 v2, v11
	v_mov_b32_e32 v9, v4
	v_mad_u64_u32 v[11:12], null, s3, v7, v[2:3]
	v_mov_b32_e32 v12, v17
	v_lshlrev_b64 v[8:9], 4, v[8:9]
	v_add_co_u32 v18, vcc_lo, v31, v0
	v_add_co_ci_u32_e32 v19, vcc_lo, v33, v1, vcc_lo
	v_mad_u64_u32 v[12:13], null, s3, v13, v[12:13]
	v_add_co_u32 v22, vcc_lo, v31, v8
	ds_read_b128 v[0:3], v30
	ds_read_b128 v[4:7], v30 offset:336
	v_add_co_ci_u32_e32 v23, vcc_lo, v33, v9, vcc_lo
	v_lshlrev_b64 v[24:25], 4, v[10:11]
	v_mov_b32_e32 v17, v12
	ds_read_b128 v[8:11], v30 offset:672
	ds_read_b128 v[12:15], v30 offset:1008
	v_mad_u64_u32 v[26:27], null, s3, v26, v[21:22]
	v_mad_u64_u32 v[27:28], null, s2, v29, 0
	v_lshlrev_b64 v[16:17], 4, v[16:17]
	v_add_co_u32 v24, vcc_lo, v31, v24
	v_add_co_ci_u32_e32 v25, vcc_lo, v33, v25, vcc_lo
	v_mov_b32_e32 v21, v26
	v_add_co_u32 v16, vcc_lo, v31, v16
	v_add_co_ci_u32_e32 v17, vcc_lo, v33, v17, vcc_lo
	s_waitcnt lgkmcnt(3)
	global_store_dwordx4 v[18:19], v[0:3], off
	v_lshlrev_b64 v[1:2], 4, v[20:21]
	s_waitcnt lgkmcnt(2)
	global_store_dwordx4 v[22:23], v[4:7], off
	s_waitcnt lgkmcnt(1)
	global_store_dwordx4 v[24:25], v[8:11], off
	;; [unrolled: 2-line block ×3, first 2 shown]
	v_mov_b32_e32 v0, v28
	v_add_nc_u32_e32 v5, 0x7e, v32
	v_add_nc_u32_e32 v14, 0x93, v32
	;; [unrolled: 1-line block ×3, first 2 shown]
	v_add_co_u32 v22, vcc_lo, v31, v1
	v_mad_u64_u32 v[3:4], null, s3, v29, v[0:1]
	v_mad_u64_u32 v[8:9], null, s2, v5, 0
	;; [unrolled: 1-line block ×4, first 2 shown]
	v_mov_b32_e32 v28, v3
	v_add_co_ci_u32_e32 v23, vcc_lo, v33, v2, vcc_lo
	v_mov_b32_e32 v0, v9
	v_lshlrev_b64 v[11:12], 4, v[27:28]
	v_mov_b32_e32 v13, v25
	v_mad_u64_u32 v[9:10], null, s3, v5, v[0:1]
	v_mov_b32_e32 v10, v21
	ds_read_b128 v[0:3], v30 offset:1344
	ds_read_b128 v[4:7], v30 offset:1680
	v_mad_u64_u32 v[14:15], null, s3, v14, v[10:11]
	v_lshlrev_b64 v[28:29], 4, v[8:9]
	v_mad_u64_u32 v[25:26], null, s3, v16, v[13:14]
	v_add_co_u32 v26, vcc_lo, v31, v11
	v_add_co_ci_u32_e32 v27, vcc_lo, v33, v12, vcc_lo
	v_mov_b32_e32 v21, v14
	ds_read_b128 v[8:11], v30 offset:2016
	ds_read_b128 v[12:15], v30 offset:2352
	;; [unrolled: 1-line block ×3, first 2 shown]
	v_add_co_u32 v28, vcc_lo, v31, v28
	v_lshlrev_b64 v[24:25], 4, v[24:25]
	v_lshlrev_b64 v[20:21], 4, v[20:21]
	v_add_co_ci_u32_e32 v29, vcc_lo, v33, v29, vcc_lo
	v_add_co_u32 v20, vcc_lo, v31, v20
	v_add_co_ci_u32_e32 v21, vcc_lo, v33, v21, vcc_lo
	v_add_co_u32 v24, vcc_lo, v31, v24
	v_add_co_ci_u32_e32 v25, vcc_lo, v33, v25, vcc_lo
	s_waitcnt lgkmcnt(4)
	global_store_dwordx4 v[22:23], v[0:3], off
	s_waitcnt lgkmcnt(3)
	global_store_dwordx4 v[26:27], v[4:7], off
	;; [unrolled: 2-line block ×5, first 2 shown]
.LBB0_16:
	s_endpgm
	.section	.rodata,"a",@progbits
	.p2align	6, 0x0
	.amdhsa_kernel fft_rtc_back_len189_factors_7_3_3_3_wgs_63_tpt_21_dp_op_CI_CI_sbrr_dirReg
		.amdhsa_group_segment_fixed_size 0
		.amdhsa_private_segment_fixed_size 0
		.amdhsa_kernarg_size 104
		.amdhsa_user_sgpr_count 6
		.amdhsa_user_sgpr_private_segment_buffer 1
		.amdhsa_user_sgpr_dispatch_ptr 0
		.amdhsa_user_sgpr_queue_ptr 0
		.amdhsa_user_sgpr_kernarg_segment_ptr 1
		.amdhsa_user_sgpr_dispatch_id 0
		.amdhsa_user_sgpr_flat_scratch_init 0
		.amdhsa_user_sgpr_private_segment_size 0
		.amdhsa_wavefront_size32 1
		.amdhsa_uses_dynamic_stack 0
		.amdhsa_system_sgpr_private_segment_wavefront_offset 0
		.amdhsa_system_sgpr_workgroup_id_x 1
		.amdhsa_system_sgpr_workgroup_id_y 0
		.amdhsa_system_sgpr_workgroup_id_z 0
		.amdhsa_system_sgpr_workgroup_info 0
		.amdhsa_system_vgpr_workitem_id 0
		.amdhsa_next_free_vgpr 88
		.amdhsa_next_free_sgpr 31
		.amdhsa_reserve_vcc 1
		.amdhsa_reserve_flat_scratch 0
		.amdhsa_float_round_mode_32 0
		.amdhsa_float_round_mode_16_64 0
		.amdhsa_float_denorm_mode_32 3
		.amdhsa_float_denorm_mode_16_64 3
		.amdhsa_dx10_clamp 1
		.amdhsa_ieee_mode 1
		.amdhsa_fp16_overflow 0
		.amdhsa_workgroup_processor_mode 1
		.amdhsa_memory_ordered 1
		.amdhsa_forward_progress 0
		.amdhsa_shared_vgpr_count 0
		.amdhsa_exception_fp_ieee_invalid_op 0
		.amdhsa_exception_fp_denorm_src 0
		.amdhsa_exception_fp_ieee_div_zero 0
		.amdhsa_exception_fp_ieee_overflow 0
		.amdhsa_exception_fp_ieee_underflow 0
		.amdhsa_exception_fp_ieee_inexact 0
		.amdhsa_exception_int_div_zero 0
	.end_amdhsa_kernel
	.text
.Lfunc_end0:
	.size	fft_rtc_back_len189_factors_7_3_3_3_wgs_63_tpt_21_dp_op_CI_CI_sbrr_dirReg, .Lfunc_end0-fft_rtc_back_len189_factors_7_3_3_3_wgs_63_tpt_21_dp_op_CI_CI_sbrr_dirReg
                                        ; -- End function
	.section	.AMDGPU.csdata,"",@progbits
; Kernel info:
; codeLenInByte = 7488
; NumSgprs: 33
; NumVgprs: 88
; ScratchSize: 0
; MemoryBound: 0
; FloatMode: 240
; IeeeMode: 1
; LDSByteSize: 0 bytes/workgroup (compile time only)
; SGPRBlocks: 4
; VGPRBlocks: 10
; NumSGPRsForWavesPerEU: 33
; NumVGPRsForWavesPerEU: 88
; Occupancy: 10
; WaveLimiterHint : 1
; COMPUTE_PGM_RSRC2:SCRATCH_EN: 0
; COMPUTE_PGM_RSRC2:USER_SGPR: 6
; COMPUTE_PGM_RSRC2:TRAP_HANDLER: 0
; COMPUTE_PGM_RSRC2:TGID_X_EN: 1
; COMPUTE_PGM_RSRC2:TGID_Y_EN: 0
; COMPUTE_PGM_RSRC2:TGID_Z_EN: 0
; COMPUTE_PGM_RSRC2:TIDIG_COMP_CNT: 0
	.text
	.p2alignl 6, 3214868480
	.fill 48, 4, 3214868480
	.type	__hip_cuid_c5af2530f8a42fe1,@object ; @__hip_cuid_c5af2530f8a42fe1
	.section	.bss,"aw",@nobits
	.globl	__hip_cuid_c5af2530f8a42fe1
__hip_cuid_c5af2530f8a42fe1:
	.byte	0                               ; 0x0
	.size	__hip_cuid_c5af2530f8a42fe1, 1

	.ident	"AMD clang version 19.0.0git (https://github.com/RadeonOpenCompute/llvm-project roc-6.4.0 25133 c7fe45cf4b819c5991fe208aaa96edf142730f1d)"
	.section	".note.GNU-stack","",@progbits
	.addrsig
	.addrsig_sym __hip_cuid_c5af2530f8a42fe1
	.amdgpu_metadata
---
amdhsa.kernels:
  - .args:
      - .actual_access:  read_only
        .address_space:  global
        .offset:         0
        .size:           8
        .value_kind:     global_buffer
      - .offset:         8
        .size:           8
        .value_kind:     by_value
      - .actual_access:  read_only
        .address_space:  global
        .offset:         16
        .size:           8
        .value_kind:     global_buffer
      - .actual_access:  read_only
        .address_space:  global
        .offset:         24
        .size:           8
        .value_kind:     global_buffer
      - .actual_access:  read_only
        .address_space:  global
        .offset:         32
        .size:           8
        .value_kind:     global_buffer
      - .offset:         40
        .size:           8
        .value_kind:     by_value
      - .actual_access:  read_only
        .address_space:  global
        .offset:         48
        .size:           8
        .value_kind:     global_buffer
      - .actual_access:  read_only
        .address_space:  global
        .offset:         56
        .size:           8
        .value_kind:     global_buffer
      - .offset:         64
        .size:           4
        .value_kind:     by_value
      - .actual_access:  read_only
        .address_space:  global
        .offset:         72
        .size:           8
        .value_kind:     global_buffer
      - .actual_access:  read_only
        .address_space:  global
        .offset:         80
        .size:           8
        .value_kind:     global_buffer
      - .actual_access:  read_only
        .address_space:  global
        .offset:         88
        .size:           8
        .value_kind:     global_buffer
      - .actual_access:  write_only
        .address_space:  global
        .offset:         96
        .size:           8
        .value_kind:     global_buffer
    .group_segment_fixed_size: 0
    .kernarg_segment_align: 8
    .kernarg_segment_size: 104
    .language:       OpenCL C
    .language_version:
      - 2
      - 0
    .max_flat_workgroup_size: 63
    .name:           fft_rtc_back_len189_factors_7_3_3_3_wgs_63_tpt_21_dp_op_CI_CI_sbrr_dirReg
    .private_segment_fixed_size: 0
    .sgpr_count:     33
    .sgpr_spill_count: 0
    .symbol:         fft_rtc_back_len189_factors_7_3_3_3_wgs_63_tpt_21_dp_op_CI_CI_sbrr_dirReg.kd
    .uniform_work_group_size: 1
    .uses_dynamic_stack: false
    .vgpr_count:     88
    .vgpr_spill_count: 0
    .wavefront_size: 32
    .workgroup_processor_mode: 1
amdhsa.target:   amdgcn-amd-amdhsa--gfx1030
amdhsa.version:
  - 1
  - 2
...

	.end_amdgpu_metadata
